;; amdgpu-corpus repo=ROCm/rocFFT kind=compiled arch=gfx1100 opt=O3
	.text
	.amdgcn_target "amdgcn-amd-amdhsa--gfx1100"
	.amdhsa_code_object_version 6
	.protected	fft_rtc_back_len1664_factors_13_2_2_4_2_2_2_wgs_208_tpt_208_halfLds_dp_ip_CI_unitstride_sbrr_C2R_dirReg ; -- Begin function fft_rtc_back_len1664_factors_13_2_2_4_2_2_2_wgs_208_tpt_208_halfLds_dp_ip_CI_unitstride_sbrr_C2R_dirReg
	.globl	fft_rtc_back_len1664_factors_13_2_2_4_2_2_2_wgs_208_tpt_208_halfLds_dp_ip_CI_unitstride_sbrr_C2R_dirReg
	.p2align	8
	.type	fft_rtc_back_len1664_factors_13_2_2_4_2_2_2_wgs_208_tpt_208_halfLds_dp_ip_CI_unitstride_sbrr_C2R_dirReg,@function
fft_rtc_back_len1664_factors_13_2_2_4_2_2_2_wgs_208_tpt_208_halfLds_dp_ip_CI_unitstride_sbrr_C2R_dirReg: ; @fft_rtc_back_len1664_factors_13_2_2_4_2_2_2_wgs_208_tpt_208_halfLds_dp_ip_CI_unitstride_sbrr_C2R_dirReg
; %bb.0:
	s_clause 0x2
	s_load_b128 s[4:7], s[0:1], 0x0
	s_load_b64 s[8:9], s[0:1], 0x50
	s_load_b64 s[10:11], s[0:1], 0x18
	v_mul_u32_u24_e32 v1, 0x13c, v0
	v_mov_b32_e32 v3, 0
	v_mov_b32_e32 v4, 0
	s_delay_alu instid0(VALU_DEP_3) | instskip(SKIP_1) | instid1(VALU_DEP_1)
	v_lshrrev_b32_e32 v2, 16, v1
	v_mov_b32_e32 v1, 0
	v_dual_mov_b32 v6, v1 :: v_dual_add_nc_u32 v5, s15, v2
	s_waitcnt lgkmcnt(0)
	v_cmp_lt_u64_e64 s2, s[6:7], 2
	s_delay_alu instid0(VALU_DEP_1)
	s_and_b32 vcc_lo, exec_lo, s2
	s_cbranch_vccnz .LBB0_8
; %bb.1:
	s_load_b64 s[2:3], s[0:1], 0x10
	v_mov_b32_e32 v3, 0
	s_add_u32 s12, s10, 8
	v_mov_b32_e32 v4, 0
	s_addc_u32 s13, s11, 0
	s_mov_b64 s[16:17], 1
	s_waitcnt lgkmcnt(0)
	s_add_u32 s14, s2, 8
	s_addc_u32 s15, s3, 0
.LBB0_2:                                ; =>This Inner Loop Header: Depth=1
	s_load_b64 s[18:19], s[14:15], 0x0
                                        ; implicit-def: $vgpr7_vgpr8
	s_mov_b32 s2, exec_lo
	s_waitcnt lgkmcnt(0)
	v_or_b32_e32 v2, s19, v6
	s_delay_alu instid0(VALU_DEP_1)
	v_cmpx_ne_u64_e32 0, v[1:2]
	s_xor_b32 s3, exec_lo, s2
	s_cbranch_execz .LBB0_4
; %bb.3:                                ;   in Loop: Header=BB0_2 Depth=1
	v_cvt_f32_u32_e32 v2, s18
	v_cvt_f32_u32_e32 v7, s19
	s_sub_u32 s2, 0, s18
	s_subb_u32 s20, 0, s19
	s_delay_alu instid0(VALU_DEP_1) | instskip(NEXT) | instid1(VALU_DEP_1)
	v_fmac_f32_e32 v2, 0x4f800000, v7
	v_rcp_f32_e32 v2, v2
	s_waitcnt_depctr 0xfff
	v_mul_f32_e32 v2, 0x5f7ffffc, v2
	s_delay_alu instid0(VALU_DEP_1) | instskip(NEXT) | instid1(VALU_DEP_1)
	v_mul_f32_e32 v7, 0x2f800000, v2
	v_trunc_f32_e32 v7, v7
	s_delay_alu instid0(VALU_DEP_1) | instskip(SKIP_1) | instid1(VALU_DEP_2)
	v_fmac_f32_e32 v2, 0xcf800000, v7
	v_cvt_u32_f32_e32 v7, v7
	v_cvt_u32_f32_e32 v2, v2
	s_delay_alu instid0(VALU_DEP_2) | instskip(NEXT) | instid1(VALU_DEP_2)
	v_mul_lo_u32 v8, s2, v7
	v_mul_hi_u32 v9, s2, v2
	v_mul_lo_u32 v10, s20, v2
	s_delay_alu instid0(VALU_DEP_2) | instskip(SKIP_1) | instid1(VALU_DEP_2)
	v_add_nc_u32_e32 v8, v9, v8
	v_mul_lo_u32 v9, s2, v2
	v_add_nc_u32_e32 v8, v8, v10
	s_delay_alu instid0(VALU_DEP_2) | instskip(NEXT) | instid1(VALU_DEP_2)
	v_mul_hi_u32 v10, v2, v9
	v_mul_lo_u32 v11, v2, v8
	v_mul_hi_u32 v12, v2, v8
	v_mul_hi_u32 v13, v7, v9
	v_mul_lo_u32 v9, v7, v9
	v_mul_hi_u32 v14, v7, v8
	v_mul_lo_u32 v8, v7, v8
	v_add_co_u32 v10, vcc_lo, v10, v11
	v_add_co_ci_u32_e32 v11, vcc_lo, 0, v12, vcc_lo
	s_delay_alu instid0(VALU_DEP_2) | instskip(NEXT) | instid1(VALU_DEP_2)
	v_add_co_u32 v9, vcc_lo, v10, v9
	v_add_co_ci_u32_e32 v9, vcc_lo, v11, v13, vcc_lo
	v_add_co_ci_u32_e32 v10, vcc_lo, 0, v14, vcc_lo
	s_delay_alu instid0(VALU_DEP_2) | instskip(NEXT) | instid1(VALU_DEP_2)
	v_add_co_u32 v8, vcc_lo, v9, v8
	v_add_co_ci_u32_e32 v9, vcc_lo, 0, v10, vcc_lo
	s_delay_alu instid0(VALU_DEP_2) | instskip(NEXT) | instid1(VALU_DEP_2)
	v_add_co_u32 v2, vcc_lo, v2, v8
	v_add_co_ci_u32_e32 v7, vcc_lo, v7, v9, vcc_lo
	s_delay_alu instid0(VALU_DEP_2) | instskip(SKIP_1) | instid1(VALU_DEP_3)
	v_mul_hi_u32 v8, s2, v2
	v_mul_lo_u32 v10, s20, v2
	v_mul_lo_u32 v9, s2, v7
	s_delay_alu instid0(VALU_DEP_1) | instskip(SKIP_1) | instid1(VALU_DEP_2)
	v_add_nc_u32_e32 v8, v8, v9
	v_mul_lo_u32 v9, s2, v2
	v_add_nc_u32_e32 v8, v8, v10
	s_delay_alu instid0(VALU_DEP_2) | instskip(NEXT) | instid1(VALU_DEP_2)
	v_mul_hi_u32 v10, v2, v9
	v_mul_lo_u32 v11, v2, v8
	v_mul_hi_u32 v12, v2, v8
	v_mul_hi_u32 v13, v7, v9
	v_mul_lo_u32 v9, v7, v9
	v_mul_hi_u32 v14, v7, v8
	v_mul_lo_u32 v8, v7, v8
	v_add_co_u32 v10, vcc_lo, v10, v11
	v_add_co_ci_u32_e32 v11, vcc_lo, 0, v12, vcc_lo
	s_delay_alu instid0(VALU_DEP_2) | instskip(NEXT) | instid1(VALU_DEP_2)
	v_add_co_u32 v9, vcc_lo, v10, v9
	v_add_co_ci_u32_e32 v9, vcc_lo, v11, v13, vcc_lo
	v_add_co_ci_u32_e32 v10, vcc_lo, 0, v14, vcc_lo
	s_delay_alu instid0(VALU_DEP_2) | instskip(NEXT) | instid1(VALU_DEP_2)
	v_add_co_u32 v8, vcc_lo, v9, v8
	v_add_co_ci_u32_e32 v9, vcc_lo, 0, v10, vcc_lo
	s_delay_alu instid0(VALU_DEP_2) | instskip(NEXT) | instid1(VALU_DEP_2)
	v_add_co_u32 v2, vcc_lo, v2, v8
	v_add_co_ci_u32_e32 v13, vcc_lo, v7, v9, vcc_lo
	s_delay_alu instid0(VALU_DEP_2) | instskip(SKIP_1) | instid1(VALU_DEP_3)
	v_mul_hi_u32 v14, v5, v2
	v_mad_u64_u32 v[9:10], null, v6, v2, 0
	v_mad_u64_u32 v[7:8], null, v5, v13, 0
	;; [unrolled: 1-line block ×3, first 2 shown]
	s_delay_alu instid0(VALU_DEP_2) | instskip(NEXT) | instid1(VALU_DEP_3)
	v_add_co_u32 v2, vcc_lo, v14, v7
	v_add_co_ci_u32_e32 v7, vcc_lo, 0, v8, vcc_lo
	s_delay_alu instid0(VALU_DEP_2) | instskip(NEXT) | instid1(VALU_DEP_2)
	v_add_co_u32 v2, vcc_lo, v2, v9
	v_add_co_ci_u32_e32 v2, vcc_lo, v7, v10, vcc_lo
	v_add_co_ci_u32_e32 v7, vcc_lo, 0, v12, vcc_lo
	s_delay_alu instid0(VALU_DEP_2) | instskip(NEXT) | instid1(VALU_DEP_2)
	v_add_co_u32 v2, vcc_lo, v2, v11
	v_add_co_ci_u32_e32 v9, vcc_lo, 0, v7, vcc_lo
	s_delay_alu instid0(VALU_DEP_2) | instskip(SKIP_1) | instid1(VALU_DEP_3)
	v_mul_lo_u32 v10, s19, v2
	v_mad_u64_u32 v[7:8], null, s18, v2, 0
	v_mul_lo_u32 v11, s18, v9
	s_delay_alu instid0(VALU_DEP_2) | instskip(NEXT) | instid1(VALU_DEP_2)
	v_sub_co_u32 v7, vcc_lo, v5, v7
	v_add3_u32 v8, v8, v11, v10
	s_delay_alu instid0(VALU_DEP_1) | instskip(NEXT) | instid1(VALU_DEP_1)
	v_sub_nc_u32_e32 v10, v6, v8
	v_subrev_co_ci_u32_e64 v10, s2, s19, v10, vcc_lo
	v_add_co_u32 v11, s2, v2, 2
	s_delay_alu instid0(VALU_DEP_1) | instskip(SKIP_3) | instid1(VALU_DEP_3)
	v_add_co_ci_u32_e64 v12, s2, 0, v9, s2
	v_sub_co_u32 v13, s2, v7, s18
	v_sub_co_ci_u32_e32 v8, vcc_lo, v6, v8, vcc_lo
	v_subrev_co_ci_u32_e64 v10, s2, 0, v10, s2
	v_cmp_le_u32_e32 vcc_lo, s18, v13
	s_delay_alu instid0(VALU_DEP_3) | instskip(SKIP_1) | instid1(VALU_DEP_4)
	v_cmp_eq_u32_e64 s2, s19, v8
	v_cndmask_b32_e64 v13, 0, -1, vcc_lo
	v_cmp_le_u32_e32 vcc_lo, s19, v10
	v_cndmask_b32_e64 v14, 0, -1, vcc_lo
	v_cmp_le_u32_e32 vcc_lo, s18, v7
	;; [unrolled: 2-line block ×3, first 2 shown]
	v_cndmask_b32_e64 v15, 0, -1, vcc_lo
	v_cmp_eq_u32_e32 vcc_lo, s19, v10
	s_delay_alu instid0(VALU_DEP_2) | instskip(SKIP_3) | instid1(VALU_DEP_3)
	v_cndmask_b32_e64 v7, v15, v7, s2
	v_cndmask_b32_e32 v10, v14, v13, vcc_lo
	v_add_co_u32 v13, vcc_lo, v2, 1
	v_add_co_ci_u32_e32 v14, vcc_lo, 0, v9, vcc_lo
	v_cmp_ne_u32_e32 vcc_lo, 0, v10
	s_delay_alu instid0(VALU_DEP_2) | instskip(NEXT) | instid1(VALU_DEP_4)
	v_cndmask_b32_e32 v8, v14, v12, vcc_lo
	v_cndmask_b32_e32 v10, v13, v11, vcc_lo
	v_cmp_ne_u32_e32 vcc_lo, 0, v7
	s_delay_alu instid0(VALU_DEP_2)
	v_dual_cndmask_b32 v7, v2, v10 :: v_dual_cndmask_b32 v8, v9, v8
.LBB0_4:                                ;   in Loop: Header=BB0_2 Depth=1
	s_and_not1_saveexec_b32 s2, s3
	s_cbranch_execz .LBB0_6
; %bb.5:                                ;   in Loop: Header=BB0_2 Depth=1
	v_cvt_f32_u32_e32 v2, s18
	s_sub_i32 s3, 0, s18
	s_delay_alu instid0(VALU_DEP_1) | instskip(SKIP_2) | instid1(VALU_DEP_1)
	v_rcp_iflag_f32_e32 v2, v2
	s_waitcnt_depctr 0xfff
	v_mul_f32_e32 v2, 0x4f7ffffe, v2
	v_cvt_u32_f32_e32 v2, v2
	s_delay_alu instid0(VALU_DEP_1) | instskip(NEXT) | instid1(VALU_DEP_1)
	v_mul_lo_u32 v7, s3, v2
	v_mul_hi_u32 v7, v2, v7
	s_delay_alu instid0(VALU_DEP_1) | instskip(NEXT) | instid1(VALU_DEP_1)
	v_add_nc_u32_e32 v2, v2, v7
	v_mul_hi_u32 v2, v5, v2
	s_delay_alu instid0(VALU_DEP_1) | instskip(SKIP_1) | instid1(VALU_DEP_2)
	v_mul_lo_u32 v7, v2, s18
	v_add_nc_u32_e32 v8, 1, v2
	v_sub_nc_u32_e32 v7, v5, v7
	s_delay_alu instid0(VALU_DEP_1) | instskip(SKIP_1) | instid1(VALU_DEP_2)
	v_subrev_nc_u32_e32 v9, s18, v7
	v_cmp_le_u32_e32 vcc_lo, s18, v7
	v_dual_cndmask_b32 v7, v7, v9 :: v_dual_cndmask_b32 v2, v2, v8
	s_delay_alu instid0(VALU_DEP_1) | instskip(NEXT) | instid1(VALU_DEP_2)
	v_cmp_le_u32_e32 vcc_lo, s18, v7
	v_add_nc_u32_e32 v8, 1, v2
	s_delay_alu instid0(VALU_DEP_1)
	v_dual_cndmask_b32 v7, v2, v8 :: v_dual_mov_b32 v8, v1
.LBB0_6:                                ;   in Loop: Header=BB0_2 Depth=1
	s_or_b32 exec_lo, exec_lo, s2
	s_load_b64 s[2:3], s[12:13], 0x0
	s_delay_alu instid0(VALU_DEP_1) | instskip(NEXT) | instid1(VALU_DEP_2)
	v_mul_lo_u32 v2, v8, s18
	v_mul_lo_u32 v11, v7, s19
	v_mad_u64_u32 v[9:10], null, v7, s18, 0
	s_add_u32 s16, s16, 1
	s_addc_u32 s17, s17, 0
	s_add_u32 s12, s12, 8
	s_addc_u32 s13, s13, 0
	;; [unrolled: 2-line block ×3, first 2 shown]
	s_delay_alu instid0(VALU_DEP_1) | instskip(SKIP_1) | instid1(VALU_DEP_2)
	v_add3_u32 v2, v10, v11, v2
	v_sub_co_u32 v9, vcc_lo, v5, v9
	v_sub_co_ci_u32_e32 v2, vcc_lo, v6, v2, vcc_lo
	s_waitcnt lgkmcnt(0)
	s_delay_alu instid0(VALU_DEP_2) | instskip(NEXT) | instid1(VALU_DEP_2)
	v_mul_lo_u32 v10, s3, v9
	v_mul_lo_u32 v2, s2, v2
	v_mad_u64_u32 v[5:6], null, s2, v9, v[3:4]
	v_cmp_ge_u64_e64 s2, s[16:17], s[6:7]
	s_delay_alu instid0(VALU_DEP_1) | instskip(NEXT) | instid1(VALU_DEP_2)
	s_and_b32 vcc_lo, exec_lo, s2
	v_add3_u32 v4, v10, v6, v2
	s_delay_alu instid0(VALU_DEP_3)
	v_mov_b32_e32 v3, v5
	s_cbranch_vccnz .LBB0_9
; %bb.7:                                ;   in Loop: Header=BB0_2 Depth=1
	v_dual_mov_b32 v5, v7 :: v_dual_mov_b32 v6, v8
	s_branch .LBB0_2
.LBB0_8:
	v_dual_mov_b32 v8, v6 :: v_dual_mov_b32 v7, v5
.LBB0_9:
	s_lshl_b64 s[2:3], s[6:7], 3
	v_mul_hi_u32 v5, 0x13b13b2, v0
	s_add_u32 s2, s10, s2
	s_addc_u32 s3, s11, s3
	s_load_b64 s[2:3], s[2:3], 0x0
	s_load_b64 s[0:1], s[0:1], 0x20
	s_waitcnt lgkmcnt(0)
	v_mul_lo_u32 v6, s2, v8
	v_mul_lo_u32 v9, s3, v7
	v_mad_u64_u32 v[1:2], null, s2, v7, v[3:4]
	v_mul_u32_u24_e32 v3, 0xd0, v5
	v_cmp_gt_u64_e32 vcc_lo, s[0:1], v[7:8]
	s_delay_alu instid0(VALU_DEP_2) | instskip(NEXT) | instid1(VALU_DEP_4)
	v_sub_nc_u32_e32 v4, v0, v3
	v_add3_u32 v2, v9, v2, v6
	s_delay_alu instid0(VALU_DEP_2) | instskip(NEXT) | instid1(VALU_DEP_2)
	v_dual_mov_b32 v5, 0 :: v_dual_mov_b32 v54, v4
	v_lshlrev_b64 v[52:53], 4, v[1:2]
	s_and_saveexec_b32 s1, vcc_lo
	s_cbranch_execz .LBB0_13
; %bb.10:
	s_delay_alu instid0(VALU_DEP_2) | instskip(NEXT) | instid1(VALU_DEP_2)
	v_lshlrev_b64 v[0:1], 4, v[4:5]
	v_add_co_u32 v2, s0, s8, v52
	s_delay_alu instid0(VALU_DEP_1) | instskip(SKIP_1) | instid1(VALU_DEP_3)
	v_add_co_ci_u32_e64 v3, s0, s9, v53, s0
	v_lshl_add_u32 v38, v4, 4, 0
	v_add_co_u32 v0, s0, v2, v0
	s_delay_alu instid0(VALU_DEP_1) | instskip(SKIP_1) | instid1(VALU_DEP_2)
	v_add_co_ci_u32_e64 v1, s0, v3, v1, s0
	s_mov_b32 s2, exec_lo
	v_add_co_u32 v14, s0, 0x1000, v0
	s_delay_alu instid0(VALU_DEP_1) | instskip(SKIP_1) | instid1(VALU_DEP_1)
	v_add_co_ci_u32_e64 v15, s0, 0, v1, s0
	v_add_co_u32 v18, s0, 0x2000, v0
	v_add_co_ci_u32_e64 v19, s0, 0, v1, s0
	v_add_co_u32 v22, s0, 0x3000, v0
	s_delay_alu instid0(VALU_DEP_1) | instskip(SKIP_1) | instid1(VALU_DEP_1)
	v_add_co_ci_u32_e64 v23, s0, 0, v1, s0
	v_add_co_u32 v30, s0, 0x4000, v0
	v_add_co_ci_u32_e64 v31, s0, 0, v1, s0
	s_clause 0x1
	global_load_b128 v[6:9], v[0:1], off
	global_load_b128 v[10:13], v[0:1], off offset:3328
	v_add_co_u32 v0, s0, 0x5000, v0
	s_delay_alu instid0(VALU_DEP_1)
	v_add_co_ci_u32_e64 v1, s0, 0, v1, s0
	s_clause 0x5
	global_load_b128 v[14:17], v[14:15], off offset:2560
	global_load_b128 v[18:21], v[18:19], off offset:1792
	;; [unrolled: 1-line block ×6, first 2 shown]
	v_dual_mov_b32 v0, v4 :: v_dual_mov_b32 v1, v5
	s_waitcnt vmcnt(7)
	ds_store_b128 v38, v[6:9]
	s_waitcnt vmcnt(6)
	ds_store_b128 v38, v[10:13] offset:3328
	s_waitcnt vmcnt(5)
	ds_store_b128 v38, v[14:17] offset:6656
	;; [unrolled: 2-line block ×7, first 2 shown]
	v_cmpx_eq_u32_e32 0xcf, v4
	s_cbranch_execz .LBB0_12
; %bb.11:
	v_add_co_u32 v0, s0, 0x6000, v2
	s_delay_alu instid0(VALU_DEP_1)
	v_add_co_ci_u32_e64 v1, s0, 0, v3, s0
	v_mov_b32_e32 v2, 0
	v_mov_b32_e32 v4, 0xcf
	global_load_b128 v[5:8], v[0:1], off offset:2048
	v_mov_b32_e32 v0, 0xcf
	v_mov_b32_e32 v1, 0
	s_waitcnt vmcnt(0)
	ds_store_b128 v2, v[5:8] offset:26624
.LBB0_12:
	s_or_b32 exec_lo, exec_lo, s2
	v_dual_mov_b32 v54, v4 :: v_dual_mov_b32 v5, v1
	v_mov_b32_e32 v4, v0
.LBB0_13:
	s_or_b32 exec_lo, exec_lo, s1
	s_delay_alu instid0(VALU_DEP_2)
	v_lshlrev_b32_e32 v0, 4, v54
	s_waitcnt lgkmcnt(0)
	s_barrier
	buffer_gl0_inv
	v_lshlrev_b64 v[57:58], 4, v[4:5]
	v_add_nc_u32_e32 v83, 0, v0
	v_sub_nc_u32_e32 v10, 0, v0
	s_add_u32 s1, s4, 0x6730
	s_addc_u32 s2, s5, 0
	s_mov_b32 s3, exec_lo
	ds_load_b64 v[6:7], v83
	ds_load_b64 v[8:9], v10 offset:26624
	s_waitcnt lgkmcnt(0)
	v_add_f64 v[0:1], v[6:7], v[8:9]
	v_add_f64 v[2:3], v[6:7], -v[8:9]
	v_cmpx_ne_u32_e32 0, v54
	s_xor_b32 s3, exec_lo, s3
	s_cbranch_execz .LBB0_15
; %bb.14:
	v_add_co_u32 v0, s0, s1, v57
	s_delay_alu instid0(VALU_DEP_1)
	v_add_co_ci_u32_e64 v1, s0, s2, v58, s0
	v_add_f64 v[13:14], v[6:7], v[8:9]
	v_add_f64 v[8:9], v[6:7], -v[8:9]
	global_load_b128 v[2:5], v[0:1], off
	ds_load_b64 v[0:1], v10 offset:26632
	ds_load_b64 v[11:12], v83 offset:8
	s_waitcnt lgkmcnt(0)
	v_add_f64 v[6:7], v[0:1], v[11:12]
	v_add_f64 v[0:1], v[11:12], -v[0:1]
	s_waitcnt vmcnt(0)
	v_fma_f64 v[11:12], v[8:9], v[4:5], v[13:14]
	v_fma_f64 v[13:14], -v[8:9], v[4:5], v[13:14]
	s_delay_alu instid0(VALU_DEP_3) | instskip(SKIP_1) | instid1(VALU_DEP_4)
	v_fma_f64 v[15:16], v[6:7], v[4:5], -v[0:1]
	v_fma_f64 v[17:18], v[6:7], v[4:5], v[0:1]
	v_fma_f64 v[0:1], -v[6:7], v[2:3], v[11:12]
	s_delay_alu instid0(VALU_DEP_4) | instskip(NEXT) | instid1(VALU_DEP_4)
	v_fma_f64 v[4:5], v[6:7], v[2:3], v[13:14]
	v_fma_f64 v[6:7], v[8:9], v[2:3], v[15:16]
	s_delay_alu instid0(VALU_DEP_4)
	v_fma_f64 v[2:3], v[8:9], v[2:3], v[17:18]
	ds_store_b128 v10, v[4:7] offset:26624
.LBB0_15:
	s_and_not1_saveexec_b32 s0, s3
	s_cbranch_execz .LBB0_17
; %bb.16:
	v_mov_b32_e32 v8, 0
	ds_load_b128 v[4:7], v8 offset:13312
	s_waitcnt lgkmcnt(0)
	v_add_f64 v[4:5], v[4:5], v[4:5]
	v_mul_f64 v[6:7], v[6:7], -2.0
	ds_store_b128 v8, v[4:7] offset:13312
.LBB0_17:
	s_or_b32 exec_lo, exec_lo, s0
	v_mov_b32_e32 v55, 0
	ds_store_b128 v83, v[0:3]
	s_mov_b32 s33, exec_lo
	v_lshlrev_b64 v[55:56], 4, v[54:55]
	s_delay_alu instid0(VALU_DEP_1) | instskip(NEXT) | instid1(VALU_DEP_1)
	v_add_co_u32 v8, s0, s1, v55
	v_add_co_ci_u32_e64 v9, s0, s2, v56, s0
	s_delay_alu instid0(VALU_DEP_2)
	v_add_co_u32 v11, s0, 0x1000, v8
	global_load_b128 v[4:7], v[8:9], off offset:3328
	v_add_co_ci_u32_e64 v12, s0, 0, v9, s0
	global_load_b128 v[11:14], v[11:12], off offset:2560
	ds_load_b128 v[0:3], v83 offset:3328
	ds_load_b128 v[15:18], v10 offset:23296
	v_add_co_u32 v8, s0, 0x2000, v8
	s_delay_alu instid0(VALU_DEP_1)
	v_add_co_ci_u32_e64 v9, s0, 0, v9, s0
	global_load_b128 v[19:22], v[8:9], off offset:1792
	s_waitcnt lgkmcnt(0)
	v_add_f64 v[23:24], v[0:1], v[15:16]
	v_add_f64 v[25:26], v[17:18], v[2:3]
	v_add_f64 v[15:16], v[0:1], -v[15:16]
	v_add_f64 v[0:1], v[2:3], -v[17:18]
	s_waitcnt vmcnt(2)
	s_delay_alu instid0(VALU_DEP_2) | instskip(NEXT) | instid1(VALU_DEP_2)
	v_fma_f64 v[2:3], v[15:16], v[6:7], v[23:24]
	v_fma_f64 v[8:9], v[25:26], v[6:7], v[0:1]
	v_fma_f64 v[17:18], -v[15:16], v[6:7], v[23:24]
	v_fma_f64 v[23:24], v[25:26], v[6:7], -v[0:1]
	s_delay_alu instid0(VALU_DEP_4) | instskip(NEXT) | instid1(VALU_DEP_4)
	v_fma_f64 v[0:1], -v[25:26], v[4:5], v[2:3]
	v_fma_f64 v[2:3], v[15:16], v[4:5], v[8:9]
	s_delay_alu instid0(VALU_DEP_4) | instskip(NEXT) | instid1(VALU_DEP_4)
	v_fma_f64 v[6:7], v[25:26], v[4:5], v[17:18]
	v_fma_f64 v[8:9], v[15:16], v[4:5], v[23:24]
	ds_store_b128 v83, v[0:3] offset:3328
	ds_store_b128 v10, v[6:9] offset:23296
	ds_load_b128 v[0:3], v83 offset:6656
	ds_load_b128 v[4:7], v10 offset:19968
	s_waitcnt lgkmcnt(0)
	v_add_f64 v[8:9], v[0:1], v[4:5]
	v_add_f64 v[15:16], v[6:7], v[2:3]
	v_add_f64 v[17:18], v[0:1], -v[4:5]
	v_add_f64 v[0:1], v[2:3], -v[6:7]
	s_waitcnt vmcnt(1)
	s_delay_alu instid0(VALU_DEP_2) | instskip(NEXT) | instid1(VALU_DEP_2)
	v_fma_f64 v[2:3], v[17:18], v[13:14], v[8:9]
	v_fma_f64 v[4:5], v[15:16], v[13:14], v[0:1]
	v_fma_f64 v[6:7], -v[17:18], v[13:14], v[8:9]
	v_fma_f64 v[8:9], v[15:16], v[13:14], -v[0:1]
	s_delay_alu instid0(VALU_DEP_4) | instskip(NEXT) | instid1(VALU_DEP_4)
	v_fma_f64 v[0:1], -v[15:16], v[11:12], v[2:3]
	v_fma_f64 v[2:3], v[17:18], v[11:12], v[4:5]
	s_delay_alu instid0(VALU_DEP_4) | instskip(NEXT) | instid1(VALU_DEP_4)
	v_fma_f64 v[4:5], v[15:16], v[11:12], v[6:7]
	v_fma_f64 v[6:7], v[17:18], v[11:12], v[8:9]
	ds_store_b128 v83, v[0:3] offset:6656
	ds_store_b128 v10, v[4:7] offset:19968
	ds_load_b128 v[0:3], v83 offset:9984
	ds_load_b128 v[4:7], v10 offset:16640
	s_waitcnt lgkmcnt(0)
	v_add_f64 v[8:9], v[0:1], v[4:5]
	v_add_f64 v[11:12], v[6:7], v[2:3]
	v_add_f64 v[13:14], v[0:1], -v[4:5]
	v_add_f64 v[0:1], v[2:3], -v[6:7]
	s_waitcnt vmcnt(0)
	s_delay_alu instid0(VALU_DEP_2) | instskip(NEXT) | instid1(VALU_DEP_2)
	v_fma_f64 v[2:3], v[13:14], v[21:22], v[8:9]
	v_fma_f64 v[4:5], v[11:12], v[21:22], v[0:1]
	v_fma_f64 v[6:7], -v[13:14], v[21:22], v[8:9]
	v_fma_f64 v[8:9], v[11:12], v[21:22], -v[0:1]
	s_delay_alu instid0(VALU_DEP_4) | instskip(NEXT) | instid1(VALU_DEP_4)
	v_fma_f64 v[0:1], -v[11:12], v[19:20], v[2:3]
	v_fma_f64 v[2:3], v[13:14], v[19:20], v[4:5]
	s_delay_alu instid0(VALU_DEP_4) | instskip(NEXT) | instid1(VALU_DEP_4)
	v_fma_f64 v[4:5], v[11:12], v[19:20], v[6:7]
	v_fma_f64 v[6:7], v[13:14], v[19:20], v[8:9]
	ds_store_b128 v83, v[0:3] offset:9984
	ds_store_b128 v10, v[4:7] offset:16640
	s_waitcnt lgkmcnt(0)
	s_barrier
	buffer_gl0_inv
	s_barrier
	buffer_gl0_inv
	ds_load_b128 v[16:19], v83
	ds_load_b128 v[48:51], v83 offset:2048
	ds_load_b128 v[36:39], v83 offset:4096
	;; [unrolled: 1-line block ×12, first 2 shown]
	s_waitcnt lgkmcnt(0)
	s_barrier
	buffer_gl0_inv
	v_cmpx_gt_u32_e32 0x80, v54
	s_cbranch_execz .LBB0_19
; %bb.18:
	v_add_f64 v[59:60], v[18:19], v[50:51]
	v_add_f64 v[61:62], v[16:17], v[48:49]
	v_add_f64 v[84:85], v[36:37], -v[4:5]
	v_add_f64 v[81:82], v[38:39], -v[6:7]
	;; [unrolled: 1-line block ×10, first 2 shown]
	s_mov_b32 s31, 0x3fddbe06
	s_mov_b32 s30, 0x4267c47c
	;; [unrolled: 1-line block ×16, first 2 shown]
	v_add_f64 v[77:78], v[50:51], v[2:3]
	v_add_f64 v[79:80], v[48:49], v[0:1]
	;; [unrolled: 1-line block ×4, first 2 shown]
	s_mov_b32 s24, 0xebaa3ed8
	s_mov_b32 s18, 0xb2365da1
	;; [unrolled: 1-line block ×6, first 2 shown]
	v_add_f64 v[59:60], v[59:60], v[38:39]
	v_add_f64 v[61:62], v[61:62], v[36:37]
	v_mul_f64 v[96:97], v[84:85], s[30:31]
	v_mul_f64 v[98:99], v[81:82], s[30:31]
	;; [unrolled: 1-line block ×16, first 2 shown]
	s_mov_b32 s25, 0x3fbedb7d
	s_mov_b32 s19, 0xbfd6b1d8
	;; [unrolled: 1-line block ×10, first 2 shown]
	v_add_f64 v[38:39], v[38:39], v[6:7]
	v_add_f64 v[36:37], v[36:37], v[4:5]
	v_mul_f64 v[132:133], v[84:85], s[22:23]
	v_mul_f64 v[134:135], v[84:85], s[34:35]
	v_mul_f64 v[136:137], v[84:85], s[0:1]
	v_mul_f64 v[138:139], v[84:85], s[20:21]
	v_mul_f64 v[84:85], v[84:85], s[26:27]
	v_mul_f64 v[140:141], v[81:82], s[22:23]
	v_mul_f64 v[142:143], v[81:82], s[34:35]
	v_mul_f64 v[144:145], v[81:82], s[0:1]
	v_add_f64 v[67:68], v[59:60], v[42:43]
	v_add_f64 v[69:70], v[61:62], v[40:41]
	v_add_f64 v[61:62], v[28:29], -v[24:25]
	v_add_f64 v[59:60], v[30:31], -v[26:27]
	v_add_f64 v[42:43], v[42:43], v[10:11]
	v_mul_f64 v[146:147], v[81:82], s[20:21]
	v_mul_f64 v[81:82], v[81:82], s[26:27]
	;; [unrolled: 1-line block ×7, first 2 shown]
	v_fma_f64 v[156:157], v[77:78], s[10:11], v[100:101]
	v_fma_f64 v[100:101], v[77:78], s[10:11], -v[100:101]
	v_fma_f64 v[158:159], v[77:78], s[12:13], v[104:105]
	v_fma_f64 v[104:105], v[77:78], s[12:13], -v[104:105]
	;; [unrolled: 2-line block ×4, first 2 shown]
	v_fma_f64 v[164:165], v[79:80], s[12:13], -v[120:121]
	v_fma_f64 v[120:121], v[79:80], s[12:13], v[120:121]
	v_fma_f64 v[166:167], v[79:80], s[18:19], -v[124:125]
	v_fma_f64 v[124:125], v[79:80], s[18:19], v[124:125]
	;; [unrolled: 2-line block ×4, first 2 shown]
	v_add_f64 v[40:41], v[40:41], v[8:9]
	v_fma_f64 v[172:173], v[38:39], s[14:15], v[96:97]
	v_fma_f64 v[96:97], v[38:39], s[14:15], -v[96:97]
	v_fma_f64 v[174:175], v[38:39], s[24:25], v[132:133]
	v_fma_f64 v[132:133], v[38:39], s[24:25], -v[132:133]
	;; [unrolled: 2-line block ×4, first 2 shown]
	v_fma_f64 v[180:181], v[38:39], s[18:19], v[138:139]
	v_add_f64 v[92:93], v[67:68], v[46:47]
	v_add_f64 v[94:95], v[69:70], v[44:45]
	;; [unrolled: 1-line block ×4, first 2 shown]
	v_mul_f64 v[122:123], v[61:62], s[30:31]
	v_mul_f64 v[126:127], v[59:60], s[30:31]
	s_mov_b32 s31, 0xbfddbe06
	v_fma_f64 v[138:139], v[38:39], s[18:19], -v[138:139]
	v_fma_f64 v[182:183], v[38:39], s[16:17], v[84:85]
	v_fma_f64 v[38:39], v[38:39], s[16:17], -v[84:85]
	v_fma_f64 v[84:85], v[36:37], s[14:15], -v[98:99]
	v_fma_f64 v[98:99], v[36:37], s[14:15], v[98:99]
	v_fma_f64 v[184:185], v[36:37], s[24:25], -v[140:141]
	v_fma_f64 v[140:141], v[36:37], s[24:25], v[140:141]
	v_fma_f64 v[190:191], v[42:43], s[16:17], v[150:151]
	v_fma_f64 v[150:151], v[42:43], s[16:17], -v[150:151]
	v_add_f64 v[156:157], v[18:19], v[156:157]
	v_add_f64 v[100:101], v[18:19], v[100:101]
	;; [unrolled: 1-line block ×16, first 2 shown]
	v_mul_f64 v[192:193], v[75:76], s[26:27]
	v_mul_f64 v[194:195], v[75:76], s[36:37]
	;; [unrolled: 1-line block ×3, first 2 shown]
	v_add_f64 v[46:47], v[46:47], v[14:15]
	v_add_f64 v[44:45], v[44:45], v[12:13]
	v_fma_f64 v[202:203], v[40:41], s[14:15], -v[114:115]
	v_add_f64 v[34:35], v[92:93], v[34:35]
	v_add_f64 v[32:33], v[94:95], v[32:33]
	v_mul_f64 v[92:93], v[90:91], s[0:1]
	v_mul_f64 v[94:95], v[86:87], s[26:27]
	;; [unrolled: 1-line block ×4, first 2 shown]
	s_mov_b32 s31, 0x3fcea1e5
	s_mov_b32 s30, s0
	v_fma_f64 v[114:115], v[40:41], s[14:15], v[114:115]
	v_add_f64 v[108:109], v[134:135], v[108:109]
	v_mul_f64 v[134:135], v[73:74], s[30:31]
	v_add_f64 v[112:113], v[136:137], v[112:113]
	v_mul_f64 v[136:137], v[65:66], s[20:21]
	v_fma_f64 v[200:201], v[40:41], s[16:17], -v[192:193]
	v_fma_f64 v[192:193], v[40:41], s[16:17], v[192:193]
	v_fma_f64 v[204:205], v[40:41], s[18:19], -v[194:195]
	v_fma_f64 v[194:195], v[40:41], s[18:19], v[194:195]
	;; [unrolled: 2-line block ×3, first 2 shown]
	v_add_f64 v[30:31], v[34:35], v[30:31]
	v_add_f64 v[28:29], v[32:33], v[28:29]
	v_fma_f64 v[32:33], v[79:80], s[10:11], -v[92:93]
	v_fma_f64 v[34:35], v[77:78], s[16:17], v[94:95]
	v_fma_f64 v[92:93], v[79:80], s[10:11], v[92:93]
	v_fma_f64 v[94:95], v[77:78], s[16:17], -v[94:95]
	v_fma_f64 v[186:187], v[77:78], s[14:15], v[86:87]
	v_fma_f64 v[188:189], v[79:80], s[14:15], -v[90:91]
	v_fma_f64 v[77:78], v[77:78], s[14:15], -v[86:87]
	v_fma_f64 v[79:80], v[79:80], s[14:15], v[90:91]
	v_fma_f64 v[86:87], v[36:37], s[12:13], -v[142:143]
	v_fma_f64 v[90:91], v[36:37], s[12:13], v[142:143]
	;; [unrolled: 2-line block ×3, first 2 shown]
	v_add_f64 v[26:27], v[30:31], v[26:27]
	v_add_f64 v[24:25], v[28:29], v[24:25]
	v_fma_f64 v[28:29], v[36:37], s[18:19], -v[146:147]
	v_fma_f64 v[30:31], v[36:37], s[18:19], v[146:147]
	v_fma_f64 v[146:147], v[36:37], s[16:17], -v[81:82]
	v_fma_f64 v[36:37], v[36:37], s[16:17], v[81:82]
	v_fma_f64 v[81:82], v[42:43], s[12:13], v[148:149]
	v_fma_f64 v[148:149], v[42:43], s[12:13], -v[148:149]
	v_add_f64 v[32:33], v[16:17], v[32:33]
	v_add_f64 v[92:93], v[16:17], v[92:93]
	;; [unrolled: 1-line block ×8, first 2 shown]
	v_fma_f64 v[77:78], v[42:43], s[14:15], v[110:111]
	v_fma_f64 v[79:80], v[42:43], s[14:15], -v[110:111]
	v_fma_f64 v[110:111], v[42:43], s[18:19], v[152:153]
	v_fma_f64 v[152:153], v[42:43], s[18:19], -v[152:153]
	v_add_f64 v[90:91], v[90:91], v[124:125]
	v_mul_f64 v[124:125], v[71:72], s[30:31]
	v_add_f64 v[86:87], v[86:87], v[166:167]
	v_add_f64 v[142:143], v[142:143], v[168:169]
	;; [unrolled: 1-line block ×3, first 2 shown]
	v_mul_f64 v[144:145], v[73:74], s[34:35]
	v_mul_f64 v[168:169], v[65:66], s[26:27]
	v_add_f64 v[22:23], v[26:27], v[22:23]
	v_add_f64 v[20:21], v[24:25], v[20:21]
	v_fma_f64 v[24:25], v[42:43], s[10:11], v[154:155]
	v_fma_f64 v[26:27], v[42:43], s[10:11], -v[154:155]
	v_fma_f64 v[154:155], v[42:43], s[24:25], v[88:89]
	v_fma_f64 v[42:43], v[42:43], s[24:25], -v[88:89]
	v_mul_f64 v[88:89], v[75:76], s[2:3]
	v_mul_f64 v[75:76], v[75:76], s[28:29]
	v_add_f64 v[32:33], v[84:85], v[32:33]
	v_add_f64 v[84:85], v[96:97], v[100:101]
	;; [unrolled: 1-line block ×6, first 2 shown]
	v_mul_f64 v[132:133], v[73:74], s[6:7]
	v_mul_f64 v[140:141], v[71:72], s[6:7]
	v_add_f64 v[98:99], v[184:185], v[164:165]
	v_add_f64 v[120:121], v[176:177], v[160:161]
	v_mul_f64 v[158:159], v[73:74], s[28:29]
	v_mul_f64 v[160:161], v[71:72], s[28:29]
	v_add_f64 v[34:35], v[180:181], v[34:35]
	v_add_f64 v[28:29], v[28:29], v[170:171]
	;; [unrolled: 4-line block ×3, first 2 shown]
	v_add_f64 v[166:167], v[182:183], v[186:187]
	v_mul_f64 v[71:72], v[71:72], s[20:21]
	v_add_f64 v[146:147], v[146:147], v[188:189]
	v_add_f64 v[18:19], v[38:39], v[18:19]
	v_fma_f64 v[174:175], v[44:45], s[10:11], -v[124:125]
	v_add_f64 v[16:17], v[36:37], v[16:17]
	v_mul_f64 v[138:139], v[65:66], s[30:31]
	v_mul_f64 v[130:131], v[63:64], s[30:31]
	v_mul_f64 v[170:171], v[63:64], s[26:27]
	v_mul_f64 v[38:39], v[65:66], s[22:23]
	v_fma_f64 v[124:125], v[44:45], s[10:11], v[124:125]
	v_add_f64 v[86:87], v[202:203], v[86:87]
	v_add_f64 v[79:80], v[79:80], v[108:109]
	v_add_f64 v[90:91], v[114:115], v[90:91]
	v_fma_f64 v[114:115], v[69:70], s[14:15], v[102:103]
	v_add_f64 v[142:143], v[204:205], v[142:143]
	v_add_f64 v[112:113], v[152:153], v[112:113]
	;; [unrolled: 1-line block ×3, first 2 shown]
	v_fma_f64 v[198:199], v[40:41], s[12:13], -v[88:89]
	v_fma_f64 v[88:89], v[40:41], s[12:13], v[88:89]
	v_fma_f64 v[208:209], v[40:41], s[24:25], -v[75:76]
	v_fma_f64 v[40:41], v[40:41], s[24:25], v[75:76]
	v_add_f64 v[75:76], v[172:173], v[156:157]
	v_add_f64 v[156:157], v[178:179], v[162:163]
	v_mul_f64 v[162:163], v[63:64], s[20:21]
	v_add_f64 v[84:85], v[148:149], v[84:85]
	v_fma_f64 v[172:173], v[46:47], s[16:17], v[132:133]
	v_fma_f64 v[148:149], v[44:45], s[16:17], -v[140:141]
	v_fma_f64 v[132:133], v[46:47], s[16:17], -v[132:133]
	v_fma_f64 v[140:141], v[44:45], s[16:17], v[140:141]
	v_add_f64 v[96:97], v[190:191], v[96:97]
	v_add_f64 v[98:99], v[200:201], v[98:99]
	v_fma_f64 v[36:37], v[46:47], s[24:25], v[158:159]
	v_fma_f64 v[176:177], v[44:45], s[24:25], -v[160:161]
	v_fma_f64 v[158:159], v[46:47], s[24:25], -v[158:159]
	v_fma_f64 v[160:161], v[44:45], s[24:25], v[160:161]
	v_add_f64 v[100:101], v[150:151], v[100:101]
	v_fma_f64 v[150:151], v[46:47], s[14:15], v[116:117]
	v_add_f64 v[104:105], v[192:193], v[104:105]
	v_fma_f64 v[178:179], v[44:45], s[14:15], -v[118:119]
	v_fma_f64 v[116:117], v[46:47], s[14:15], -v[116:117]
	v_fma_f64 v[118:119], v[44:45], s[14:15], v[118:119]
	v_add_f64 v[77:78], v[77:78], v[120:121]
	v_fma_f64 v[120:121], v[46:47], s[12:13], v[144:145]
	v_fma_f64 v[144:145], v[46:47], s[12:13], -v[144:145]
	v_fma_f64 v[182:183], v[46:47], s[18:19], v[73:74]
	v_add_f64 v[24:25], v[24:25], v[34:35]
	v_add_f64 v[14:15], v[22:23], v[14:15]
	;; [unrolled: 1-line block ×7, first 2 shown]
	v_fma_f64 v[180:181], v[69:70], s[18:19], v[136:137]
	v_fma_f64 v[136:137], v[69:70], s[18:19], -v[136:137]
	v_add_f64 v[18:19], v[42:43], v[18:19]
	v_add_f64 v[32:33], v[198:199], v[32:33]
	;; [unrolled: 1-line block ×3, first 2 shown]
	v_fma_f64 v[92:93], v[46:47], s[10:11], v[134:135]
	v_fma_f64 v[134:135], v[46:47], s[10:11], -v[134:135]
	v_add_f64 v[75:76], v[81:82], v[75:76]
	v_mul_f64 v[81:82], v[63:64], s[22:23]
	v_fma_f64 v[108:109], v[67:68], s[18:19], -v[162:163]
	v_add_f64 v[110:111], v[110:111], v[156:157]
	v_fma_f64 v[156:157], v[44:45], s[12:13], -v[164:165]
	v_fma_f64 v[164:165], v[44:45], s[12:13], v[164:165]
	v_fma_f64 v[46:47], v[46:47], s[18:19], -v[73:74]
	v_fma_f64 v[73:74], v[44:45], s[18:19], -v[71:72]
	v_fma_f64 v[44:45], v[44:45], s[18:19], v[71:72]
	v_fma_f64 v[71:72], v[67:68], s[14:15], -v[106:107]
	v_add_f64 v[42:43], v[174:175], v[98:99]
	v_mul_f64 v[30:31], v[65:66], s[2:3]
	v_mul_f64 v[63:64], v[63:64], s[2:3]
	v_add_f64 v[16:17], v[40:41], v[16:17]
	v_mul_f64 v[65:66], v[61:62], s[22:23]
	v_fma_f64 v[102:103], v[69:70], s[14:15], -v[102:103]
	v_add_f64 v[98:99], v[124:125], v[104:105]
	v_add_f64 v[79:80], v[158:159], v[79:80]
	;; [unrolled: 1-line block ×3, first 2 shown]
	v_fma_f64 v[112:113], v[67:68], s[10:11], v[130:131]
	v_add_f64 v[36:37], v[36:37], v[77:78]
	v_add_f64 v[77:78], v[176:177], v[86:87]
	v_add_f64 v[86:87], v[160:161], v[90:91]
	v_fma_f64 v[116:117], v[67:68], s[16:17], -v[170:171]
	v_add_f64 v[24:25], v[120:121], v[24:25]
	v_add_f64 v[10:11], v[14:15], v[10:11]
	;; [unrolled: 1-line block ×3, first 2 shown]
	v_fma_f64 v[120:121], v[67:68], s[16:17], v[170:171]
	v_add_f64 v[14:15], v[144:145], v[22:23]
	v_fma_f64 v[124:125], v[69:70], s[24:25], v[38:39]
	v_add_f64 v[22:23], v[182:183], v[28:29]
	v_fma_f64 v[28:29], v[67:68], s[10:11], -v[130:131]
	v_fma_f64 v[38:39], v[69:70], s[24:25], -v[38:39]
	v_mul_f64 v[94:95], v[61:62], s[20:21]
	v_add_f64 v[32:33], v[148:149], v[32:33]
	v_fma_f64 v[106:107], v[67:68], s[14:15], v[106:107]
	v_fma_f64 v[162:163], v[67:68], s[18:19], v[162:163]
	v_add_f64 v[40:41], v[134:135], v[100:101]
	v_add_f64 v[34:35], v[172:173], v[75:76]
	;; [unrolled: 1-line block ×6, first 2 shown]
	v_mul_f64 v[92:93], v[59:60], s[22:23]
	v_add_f64 v[90:91], v[150:151], v[110:111]
	v_add_f64 v[100:101], v[178:179], v[142:143]
	;; [unrolled: 1-line block ×5, first 2 shown]
	v_fma_f64 v[26:27], v[69:70], s[10:11], v[138:139]
	v_fma_f64 v[118:119], v[69:70], s[16:17], -v[168:169]
	v_fma_f64 v[128:129], v[67:68], s[24:25], -v[81:82]
	v_fma_f64 v[81:82], v[67:68], s[24:25], v[81:82]
	v_mul_f64 v[134:135], v[61:62], s[6:7]
	v_add_f64 v[42:43], v[71:72], v[42:43]
	v_mul_f64 v[71:72], v[59:60], s[6:7]
	v_mul_f64 v[96:97], v[59:60], s[20:21]
	v_fma_f64 v[130:131], v[69:70], s[12:13], v[30:31]
	v_fma_f64 v[30:31], v[69:70], s[12:13], -v[30:31]
	v_add_f64 v[18:19], v[46:47], v[18:19]
	v_fma_f64 v[46:47], v[67:68], s[12:13], v[63:64]
	v_add_f64 v[16:17], v[44:45], v[16:17]
	v_fma_f64 v[63:64], v[67:68], s[12:13], -v[63:64]
	v_add_f64 v[28:29], v[28:29], v[77:78]
	v_add_f64 v[77:78], v[112:113], v[86:87]
	v_fma_f64 v[44:45], v[50:51], s[18:19], v[94:95]
	v_add_f64 v[32:33], v[108:109], v[32:33]
	v_fma_f64 v[108:109], v[69:70], s[10:11], -v[138:139]
	v_add_f64 v[98:99], v[106:107], v[98:99]
	v_add_f64 v[40:41], v[102:103], v[40:41]
	;; [unrolled: 1-line block ×4, first 2 shown]
	v_mul_f64 v[136:137], v[61:62], s[2:3]
	v_add_f64 v[88:89], v[114:115], v[88:89]
	v_fma_f64 v[114:115], v[69:70], s[16:17], v[168:169]
	v_add_f64 v[73:74], v[73:74], v[132:133]
	v_mul_f64 v[132:133], v[59:60], s[2:3]
	v_mul_f64 v[61:62], v[61:62], s[0:1]
	;; [unrolled: 1-line block ×3, first 2 shown]
	v_fma_f64 v[102:103], v[50:51], s[24:25], v[65:66]
	v_fma_f64 v[69:70], v[48:49], s[24:25], -v[92:93]
	v_add_f64 v[26:27], v[26:27], v[36:37]
	v_add_f64 v[86:87], v[116:117], v[100:101]
	;; [unrolled: 1-line block ×3, first 2 shown]
	v_fma_f64 v[120:121], v[48:49], s[14:15], v[126:127]
	v_fma_f64 v[110:111], v[50:51], s[16:17], -v[134:135]
	v_fma_f64 v[94:95], v[50:51], s[18:19], -v[94:95]
	;; [unrolled: 1-line block ×3, first 2 shown]
	v_fma_f64 v[71:72], v[48:49], s[16:17], v[71:72]
	v_fma_f64 v[67:68], v[48:49], s[18:19], -v[96:97]
	v_fma_f64 v[96:97], v[48:49], s[18:19], v[96:97]
	v_add_f64 v[84:85], v[162:163], v[84:85]
	v_fma_f64 v[65:66], v[50:51], s[24:25], -v[65:66]
	v_fma_f64 v[92:93], v[48:49], s[24:25], v[92:93]
	v_fma_f64 v[126:127], v[48:49], s[14:15], -v[126:127]
	v_add_f64 v[106:107], v[10:11], v[6:7]
	v_add_f64 v[138:139], v[8:9], v[4:5]
	;; [unrolled: 1-line block ×4, first 2 shown]
	v_fma_f64 v[116:117], v[50:51], s[12:13], -v[136:137]
	v_add_f64 v[79:80], v[114:115], v[90:91]
	v_add_f64 v[90:91], v[118:119], v[104:105]
	;; [unrolled: 1-line block ×5, first 2 shown]
	v_fma_f64 v[118:119], v[50:51], s[14:15], -v[122:123]
	v_fma_f64 v[20:21], v[50:51], s[16:17], v[134:135]
	v_fma_f64 v[124:125], v[48:49], s[12:13], v[132:133]
	;; [unrolled: 1-line block ×3, first 2 shown]
	v_fma_f64 v[128:129], v[48:49], s[12:13], -v[132:133]
	v_fma_f64 v[122:123], v[50:51], s[14:15], v[122:123]
	v_add_f64 v[81:82], v[130:131], v[22:23]
	v_fma_f64 v[130:131], v[50:51], s[10:11], v[61:62]
	v_fma_f64 v[50:51], v[50:51], s[10:11], -v[61:62]
	v_add_f64 v[61:62], v[30:31], v[18:19]
	v_fma_f64 v[132:133], v[48:49], s[10:11], v[59:60]
	v_add_f64 v[134:135], v[46:47], v[16:17]
	v_fma_f64 v[59:60], v[48:49], s[10:11], -v[59:60]
	v_add_f64 v[63:64], v[63:64], v[73:74]
	v_add_f64 v[6:7], v[102:103], v[34:35]
	;; [unrolled: 1-line block ×27, first 2 shown]
	v_mad_u32_u24 v59, 0xc0, v54, v83
	ds_store_b128 v59, v[32:35] offset:32
	ds_store_b128 v59, v[28:31] offset:48
	;; [unrolled: 1-line block ×11, first 2 shown]
	ds_store_b128 v59, v[0:3]
	ds_store_b128 v59, v[44:47] offset:192
.LBB0_19:
	s_or_b32 exec_lo, exec_lo, s33
	v_add_nc_u32_e32 v4, 0xd0, v54
	v_add_nc_u32_e32 v0, 0x1a0, v54
	v_and_b32_e32 v2, 0xff, v54
	v_add_nc_u32_e32 v1, 0x270, v54
	s_waitcnt lgkmcnt(0)
	v_and_b32_e32 v3, 0xffff, v4
	v_and_b32_e32 v7, 0xffff, v0
	v_mul_lo_u16 v6, 0x4f, v2
	v_and_b32_e32 v2, 0xffff, v1
	s_barrier
	v_mul_u32_u24_e32 v5, 0x4ec5, v3
	v_mul_u32_u24_e32 v3, 0x4ec5, v7
	v_lshrrev_b16 v47, 10, v6
	v_mul_u32_u24_e32 v2, 0x4ec5, v2
	buffer_gl0_inv
	v_lshrrev_b32_e32 v48, 18, v5
	v_lshrrev_b32_e32 v49, 18, v3
	v_mul_lo_u16 v7, v47, 13
	v_lshrrev_b32_e32 v50, 18, v2
	v_lshrrev_b16 v62, 11, v6
	v_mul_lo_u16 v8, v48, 13
	v_mul_lo_u16 v9, v49, 13
	v_sub_nc_u16 v7, v54, v7
	v_mul_lo_u16 v10, v50, 13
	v_lshrrev_b32_e32 v63, 19, v3
	v_sub_nc_u16 v8, v4, v8
	v_sub_nc_u16 v9, v0, v9
	v_and_b32_e32 v7, 0xff, v7
	v_sub_nc_u16 v10, v1, v10
	v_lshrrev_b32_e32 v64, 19, v2
	v_and_b32_e32 v8, 0xffff, v8
	v_and_b32_e32 v9, 0xffff, v9
	v_lshlrev_b32_e32 v51, 4, v7
	v_and_b32_e32 v11, 0xffff, v10
	v_lshrrev_b16 v71, 12, v6
	v_lshlrev_b32_e32 v59, 4, v8
	v_lshlrev_b32_e32 v60, 4, v9
	global_load_b128 v[7:10], v51, s[4:5]
	v_lshlrev_b32_e32 v61, 4, v11
	v_lshrrev_b32_e32 v72, 20, v5
	s_clause 0x2
	global_load_b128 v[11:14], v59, s[4:5]
	global_load_b128 v[15:18], v60, s[4:5]
	global_load_b128 v[19:22], v61, s[4:5]
	ds_load_b128 v[23:26], v83 offset:13312
	ds_load_b128 v[27:30], v83 offset:16640
	;; [unrolled: 1-line block ×4, first 2 shown]
	v_lshrrev_b32_e32 v3, 22, v3
	v_lshrrev_b32_e32 v2, 22, v2
	s_delay_alu instid0(VALU_DEP_2) | instskip(NEXT) | instid1(VALU_DEP_2)
	v_mul_lo_u16 v3, 0xd0, v3
	v_mul_lo_u16 v2, 0xd0, v2
	s_waitcnt vmcnt(3) lgkmcnt(3)
	v_mul_f64 v[39:40], v[25:26], v[9:10]
	v_mul_f64 v[9:10], v[23:24], v[9:10]
	s_waitcnt vmcnt(2) lgkmcnt(2)
	v_mul_f64 v[41:42], v[29:30], v[13:14]
	v_mul_f64 v[13:14], v[27:28], v[13:14]
	;; [unrolled: 3-line block ×4, first 2 shown]
	v_fma_f64 v[23:24], v[23:24], v[7:8], v[39:40]
	v_fma_f64 v[25:26], v[25:26], v[7:8], -v[9:10]
	v_fma_f64 v[27:28], v[27:28], v[11:12], v[41:42]
	v_fma_f64 v[29:30], v[29:30], v[11:12], -v[13:14]
	;; [unrolled: 2-line block ×4, first 2 shown]
	ds_load_b128 v[7:10], v83
	ds_load_b128 v[11:14], v83 offset:3328
	ds_load_b128 v[15:18], v83 offset:6656
	;; [unrolled: 1-line block ×3, first 2 shown]
	v_and_b32_e32 v39, 0xffff, v47
	v_lshrrev_b32_e32 v47, 19, v5
	v_mul_lo_u16 v40, v62, 26
	v_mul_lo_u16 v43, v63, 26
	;; [unrolled: 1-line block ×3, first 2 shown]
	v_mul_u32_u24_e32 v39, 0x1a0, v39
	v_mul_lo_u16 v42, v47, 26
	v_sub_nc_u16 v40, v54, v40
	v_sub_nc_u16 v43, v0, v43
	;; [unrolled: 1-line block ×3, first 2 shown]
	v_mul_u32_u24_e32 v41, 0x1a0, v48
	v_sub_nc_u16 v42, v4, v42
	v_and_b32_e32 v40, 0xff, v40
	v_mul_u32_u24_e32 v45, 0x1a0, v49
	v_mul_u32_u24_e32 v46, 0x1a0, v50
	v_and_b32_e32 v43, 0xffff, v43
	v_and_b32_e32 v42, 0xffff, v42
	v_lshlrev_b32_e32 v48, 4, v40
	v_add3_u32 v39, 0, v39, v51
	v_and_b32_e32 v40, 0xffff, v44
	v_add3_u32 v41, 0, v41, v59
	v_lshlrev_b32_e32 v49, 4, v42
	v_add3_u32 v42, 0, v45, v60
	v_lshlrev_b32_e32 v50, 4, v43
	s_waitcnt lgkmcnt(0)
	s_barrier
	buffer_gl0_inv
	v_add3_u32 v43, 0, v46, v61
	v_lshlrev_b32_e32 v51, 4, v40
	v_add_f64 v[23:24], v[7:8], -v[23:24]
	v_add_f64 v[25:26], v[9:10], -v[25:26]
	;; [unrolled: 1-line block ×8, first 2 shown]
	v_sub_nc_u16 v0, v0, v3
	v_sub_nc_u16 v1, v1, v2
	s_delay_alu instid0(VALU_DEP_2)
	v_and_b32_e32 v0, 0xffff, v0
	v_fma_f64 v[7:8], v[7:8], 2.0, -v[23:24]
	v_fma_f64 v[9:10], v[9:10], 2.0, -v[25:26]
	;; [unrolled: 1-line block ×8, first 2 shown]
	ds_store_b128 v39, v[7:10]
	ds_store_b128 v39, v[23:26] offset:208
	ds_store_b128 v41, v[11:14]
	ds_store_b128 v41, v[27:30] offset:208
	ds_store_b128 v42, v[15:18]
	ds_store_b128 v42, v[31:34] offset:208
	ds_store_b128 v43, v[19:22]
	ds_store_b128 v43, v[35:38] offset:208
	s_waitcnt lgkmcnt(0)
	s_barrier
	buffer_gl0_inv
	s_clause 0x3
	global_load_b128 v[7:10], v48, s[4:5] offset:208
	global_load_b128 v[11:14], v49, s[4:5] offset:208
	;; [unrolled: 1-line block ×4, first 2 shown]
	ds_load_b128 v[23:26], v83 offset:13312
	ds_load_b128 v[27:30], v83 offset:16640
	;; [unrolled: 1-line block ×4, first 2 shown]
	s_waitcnt vmcnt(2) lgkmcnt(2)
	v_mul_f64 v[41:42], v[29:30], v[13:14]
	v_mul_f64 v[39:40], v[25:26], v[9:10]
	;; [unrolled: 1-line block ×4, first 2 shown]
	s_waitcnt vmcnt(1) lgkmcnt(1)
	v_mul_f64 v[43:44], v[33:34], v[17:18]
	v_mul_f64 v[17:18], v[31:32], v[17:18]
	s_waitcnt vmcnt(0) lgkmcnt(0)
	v_mul_f64 v[45:46], v[37:38], v[21:22]
	v_mul_f64 v[21:22], v[35:36], v[21:22]
	v_fma_f64 v[27:28], v[27:28], v[11:12], v[41:42]
	v_fma_f64 v[23:24], v[23:24], v[7:8], v[39:40]
	v_fma_f64 v[25:26], v[25:26], v[7:8], -v[9:10]
	v_fma_f64 v[29:30], v[29:30], v[11:12], -v[13:14]
	v_fma_f64 v[31:32], v[31:32], v[15:16], v[43:44]
	v_fma_f64 v[33:34], v[33:34], v[15:16], -v[17:18]
	v_fma_f64 v[35:36], v[35:36], v[19:20], v[45:46]
	v_fma_f64 v[37:38], v[37:38], v[19:20], -v[21:22]
	ds_load_b128 v[7:10], v83
	ds_load_b128 v[11:14], v83 offset:3328
	ds_load_b128 v[15:18], v83 offset:6656
	ds_load_b128 v[19:22], v83 offset:9984
	v_and_b32_e32 v39, 0xffff, v62
	v_mul_u32_u24_e32 v40, 0x340, v64
	s_waitcnt lgkmcnt(0)
	s_barrier
	buffer_gl0_inv
	v_add3_u32 v40, 0, v40, v51
	v_add_f64 v[27:28], v[11:12], -v[27:28]
	v_add_f64 v[23:24], v[7:8], -v[23:24]
	v_add_f64 v[25:26], v[9:10], -v[25:26]
	v_add_f64 v[29:30], v[13:14], -v[29:30]
	v_add_f64 v[31:32], v[15:16], -v[31:32]
	v_add_f64 v[33:34], v[17:18], -v[33:34]
	v_add_f64 v[35:36], v[19:20], -v[35:36]
	v_add_f64 v[37:38], v[21:22], -v[37:38]
	v_fma_f64 v[6:7], v[7:8], 2.0, -v[23:24]
	v_fma_f64 v[8:9], v[9:10], 2.0, -v[25:26]
	;; [unrolled: 1-line block ×8, first 2 shown]
	v_mul_lo_u16 v22, v71, 52
	s_delay_alu instid0(VALU_DEP_1) | instskip(SKIP_1) | instid1(VALU_DEP_2)
	v_sub_nc_u16 v5, v54, v22
	v_mul_lo_u16 v22, v72, 52
	v_and_b32_e32 v73, 0xff, v5
	s_delay_alu instid0(VALU_DEP_2) | instskip(SKIP_2) | instid1(VALU_DEP_4)
	v_sub_nc_u16 v4, v4, v22
	v_mul_u32_u24_e32 v5, 0x340, v39
	v_mul_u32_u24_e32 v22, 0x340, v47
	;; [unrolled: 1-line block ×3, first 2 shown]
	s_delay_alu instid0(VALU_DEP_4)
	v_and_b32_e32 v74, 0xffff, v4
	v_mul_u32_u24_e32 v4, 0x340, v63
	v_add3_u32 v5, 0, v5, v48
	v_add3_u32 v22, 0, v22, v49
	v_lshlrev_b32_e32 v39, 4, v39
	v_mul_u32_u24_e32 v41, 3, v74
	v_add3_u32 v4, 0, v4, v50
	v_lshlrev_b32_e32 v2, 4, v73
	ds_store_b128 v5, v[6:9]
	ds_store_b128 v5, v[23:26] offset:416
	ds_store_b128 v22, v[10:13]
	ds_store_b128 v22, v[27:30] offset:416
	;; [unrolled: 2-line block ×4, first 2 shown]
	v_lshlrev_b32_e32 v24, 4, v41
	s_waitcnt lgkmcnt(0)
	s_barrier
	buffer_gl0_inv
	s_clause 0x5
	global_load_b128 v[4:7], v39, s[4:5] offset:624
	global_load_b128 v[8:11], v39, s[4:5] offset:640
	;; [unrolled: 1-line block ×6, first 2 shown]
	ds_load_b128 v[28:31], v83 offset:6656
	ds_load_b128 v[32:35], v83 offset:13312
	;; [unrolled: 1-line block ×6, first 2 shown]
	s_waitcnt vmcnt(4) lgkmcnt(4)
	v_mul_f64 v[61:62], v[34:35], v[10:11]
	v_mul_f64 v[10:11], v[32:33], v[10:11]
	s_waitcnt vmcnt(3) lgkmcnt(3)
	v_mul_f64 v[63:64], v[38:39], v[14:15]
	v_mul_f64 v[59:60], v[30:31], v[6:7]
	;; [unrolled: 1-line block ×4, first 2 shown]
	s_waitcnt vmcnt(2) lgkmcnt(2)
	v_mul_f64 v[65:66], v[42:43], v[18:19]
	v_mul_f64 v[18:19], v[40:41], v[18:19]
	s_waitcnt vmcnt(1) lgkmcnt(1)
	v_mul_f64 v[67:68], v[46:47], v[22:23]
	v_mul_f64 v[22:23], v[44:45], v[22:23]
	;; [unrolled: 3-line block ×3, first 2 shown]
	v_fma_f64 v[32:33], v[32:33], v[8:9], v[61:62]
	v_fma_f64 v[34:35], v[34:35], v[8:9], -v[10:11]
	v_fma_f64 v[36:37], v[36:37], v[12:13], v[63:64]
	v_fma_f64 v[28:29], v[28:29], v[4:5], v[59:60]
	v_fma_f64 v[30:31], v[30:31], v[4:5], -v[6:7]
	v_fma_f64 v[12:13], v[38:39], v[12:13], -v[14:15]
	v_fma_f64 v[14:15], v[40:41], v[16:17], v[65:66]
	v_fma_f64 v[16:17], v[42:43], v[16:17], -v[18:19]
	v_fma_f64 v[18:19], v[44:45], v[20:21], v[67:68]
	;; [unrolled: 2-line block ×3, first 2 shown]
	v_fma_f64 v[24:25], v[50:51], v[24:25], -v[26:27]
	ds_load_b128 v[4:7], v83
	ds_load_b128 v[8:11], v83 offset:3328
	s_waitcnt lgkmcnt(0)
	s_barrier
	buffer_gl0_inv
	v_add_f64 v[26:27], v[4:5], -v[32:33]
	v_add_f64 v[32:33], v[6:7], -v[34:35]
	;; [unrolled: 1-line block ×8, first 2 shown]
	v_fma_f64 v[40:41], v[4:5], 2.0, -v[26:27]
	v_fma_f64 v[42:43], v[6:7], 2.0, -v[32:33]
	v_fma_f64 v[22:23], v[28:29], 2.0, -v[34:35]
	v_add_f64 v[6:7], v[32:33], -v[34:35]
	v_fma_f64 v[24:25], v[30:31], 2.0, -v[12:13]
	v_add_f64 v[4:5], v[26:27], v[12:13]
	v_fma_f64 v[44:45], v[8:9], 2.0, -v[36:37]
	v_fma_f64 v[46:47], v[10:11], 2.0, -v[38:39]
	;; [unrolled: 1-line block ×4, first 2 shown]
	v_add_f64 v[8:9], v[36:37], v[18:19]
	v_add_f64 v[12:13], v[40:41], -v[22:23]
	v_fma_f64 v[22:23], v[32:33], 2.0, -v[6:7]
	v_add_f64 v[14:15], v[42:43], -v[24:25]
	v_add_f64 v[16:17], v[44:45], -v[10:11]
	;; [unrolled: 1-line block ×4, first 2 shown]
	v_fma_f64 v[20:21], v[26:27], 2.0, -v[4:5]
	v_fma_f64 v[24:25], v[36:37], 2.0, -v[8:9]
	v_and_b32_e32 v36, 0xffff, v71
	s_delay_alu instid0(VALU_DEP_1) | instskip(SKIP_1) | instid1(VALU_DEP_1)
	v_mul_u32_u24_e32 v3, 0xd00, v36
	v_add_co_u32 v36, s0, s4, v57
	v_add_co_ci_u32_e64 v37, s0, s5, v58, s0
	v_fma_f64 v[28:29], v[40:41], 2.0, -v[12:13]
	v_and_b32_e32 v40, 0xffff, v1
	v_fma_f64 v[30:31], v[42:43], 2.0, -v[14:15]
	v_add3_u32 v1, 0, v3, v2
	v_fma_f64 v[32:33], v[44:45], 2.0, -v[16:17]
	v_fma_f64 v[34:35], v[46:47], 2.0, -v[18:19]
	;; [unrolled: 1-line block ×3, first 2 shown]
	v_mul_u32_u24_e32 v38, 0xd00, v72
	v_lshlrev_b32_e32 v39, 4, v74
	v_lshlrev_b32_e32 v46, 4, v0
	;; [unrolled: 1-line block ×3, first 2 shown]
	s_delay_alu instid0(VALU_DEP_3)
	v_add3_u32 v0, 0, v38, v39
	ds_store_b128 v1, v[12:15] offset:1664
	ds_store_b128 v1, v[4:7] offset:2496
	ds_store_b128 v1, v[28:31]
	ds_store_b128 v1, v[20:23] offset:832
	ds_store_b128 v0, v[32:35]
	ds_store_b128 v0, v[24:27] offset:832
	ds_store_b128 v0, v[16:19] offset:1664
	;; [unrolled: 1-line block ×3, first 2 shown]
	s_waitcnt lgkmcnt(0)
	s_barrier
	buffer_gl0_inv
	s_clause 0x2
	global_load_b128 v[0:3], v[36:37], off offset:3120
	global_load_b128 v[4:7], v46, s[4:5] offset:3120
	global_load_b128 v[8:11], v47, s[4:5] offset:3120
	ds_load_b128 v[12:15], v83 offset:13312
	ds_load_b128 v[16:19], v83 offset:16640
	;; [unrolled: 1-line block ×4, first 2 shown]
	s_waitcnt vmcnt(1) lgkmcnt(1)
	v_mul_f64 v[34:35], v[22:23], v[6:7]
	v_mul_f64 v[28:29], v[14:15], v[2:3]
	;; [unrolled: 1-line block ×6, first 2 shown]
	s_waitcnt vmcnt(0) lgkmcnt(0)
	v_mul_f64 v[38:39], v[26:27], v[10:11]
	v_mul_f64 v[10:11], v[24:25], v[10:11]
	v_fma_f64 v[34:35], v[20:21], v[4:5], v[34:35]
	v_fma_f64 v[28:29], v[12:13], v[0:1], v[28:29]
	v_fma_f64 v[30:31], v[14:15], v[0:1], -v[30:31]
	v_fma_f64 v[32:33], v[16:17], v[0:1], v[32:33]
	v_fma_f64 v[40:41], v[18:19], v[0:1], -v[2:3]
	v_fma_f64 v[42:43], v[22:23], v[4:5], -v[6:7]
	v_fma_f64 v[38:39], v[24:25], v[8:9], v[38:39]
	v_fma_f64 v[44:45], v[26:27], v[8:9], -v[10:11]
	ds_load_b128 v[0:3], v83
	ds_load_b128 v[4:7], v83 offset:3328
	ds_load_b128 v[8:11], v83 offset:6656
	;; [unrolled: 1-line block ×3, first 2 shown]
	s_waitcnt lgkmcnt(0)
	s_barrier
	buffer_gl0_inv
	v_add_f64 v[24:25], v[8:9], -v[34:35]
	v_add_f64 v[16:17], v[0:1], -v[28:29]
	;; [unrolled: 1-line block ×8, first 2 shown]
	v_add_co_u32 v42, s0, s4, v55
	s_delay_alu instid0(VALU_DEP_1) | instskip(SKIP_1) | instid1(VALU_DEP_1)
	v_add_co_ci_u32_e64 v43, s0, s5, v56, s0
	v_add_co_u32 v32, s0, 0x1000, v36
	v_add_co_ci_u32_e64 v33, s0, 0, v37, s0
	s_delay_alu instid0(VALU_DEP_4) | instskip(NEXT) | instid1(VALU_DEP_1)
	v_add_co_u32 v34, s0, 0x2000, v42
	v_add_co_ci_u32_e64 v35, s0, 0, v43, s0
	v_add_nc_u32_e32 v38, 0, v46
	v_add_nc_u32_e32 v39, 0, v47
	v_fma_f64 v[8:9], v[8:9], 2.0, -v[24:25]
	v_fma_f64 v[0:1], v[0:1], 2.0, -v[16:17]
	;; [unrolled: 1-line block ×8, first 2 shown]
	ds_store_b128 v83, v[0:3]
	ds_store_b128 v83, v[16:19] offset:3328
	ds_store_b128 v83, v[4:7] offset:6656
	;; [unrolled: 1-line block ×7, first 2 shown]
	s_waitcnt lgkmcnt(0)
	s_barrier
	buffer_gl0_inv
	s_clause 0x1
	global_load_b128 v[0:3], v[32:33], off offset:2352
	global_load_b128 v[4:7], v[34:35], off offset:1584
	ds_load_b128 v[8:11], v83 offset:13312
	ds_load_b128 v[12:15], v83 offset:16640
	;; [unrolled: 1-line block ×4, first 2 shown]
	s_waitcnt vmcnt(1) lgkmcnt(3)
	v_mul_f64 v[24:25], v[10:11], v[2:3]
	v_mul_f64 v[26:27], v[8:9], v[2:3]
	s_waitcnt vmcnt(0) lgkmcnt(2)
	v_mul_f64 v[28:29], v[14:15], v[6:7]
	v_mul_f64 v[30:31], v[12:13], v[6:7]
	s_waitcnt lgkmcnt(1)
	v_mul_f64 v[32:33], v[18:19], v[2:3]
	v_mul_f64 v[2:3], v[16:17], v[2:3]
	s_waitcnt lgkmcnt(0)
	v_mul_f64 v[34:35], v[22:23], v[6:7]
	v_mul_f64 v[6:7], v[20:21], v[6:7]
	v_fma_f64 v[24:25], v[8:9], v[0:1], v[24:25]
	v_fma_f64 v[26:27], v[10:11], v[0:1], -v[26:27]
	v_fma_f64 v[28:29], v[12:13], v[4:5], v[28:29]
	v_fma_f64 v[30:31], v[14:15], v[4:5], -v[30:31]
	;; [unrolled: 2-line block ×4, first 2 shown]
	ds_load_b128 v[0:3], v83
	ds_load_b128 v[4:7], v83 offset:3328
	ds_load_b128 v[8:11], v83 offset:6656
	;; [unrolled: 1-line block ×3, first 2 shown]
	s_waitcnt lgkmcnt(0)
	s_barrier
	buffer_gl0_inv
	v_add_f64 v[16:17], v[0:1], -v[24:25]
	v_add_f64 v[18:19], v[2:3], -v[26:27]
	;; [unrolled: 1-line block ×8, first 2 shown]
	v_add_co_u32 v32, s0, 0x3000, v36
	s_delay_alu instid0(VALU_DEP_1) | instskip(SKIP_1) | instid1(VALU_DEP_1)
	v_add_co_ci_u32_e64 v33, s0, 0, v37, s0
	v_add_co_u32 v34, s0, 0x4000, v42
	v_add_co_ci_u32_e64 v35, s0, 0, v43, s0
	v_fma_f64 v[0:1], v[0:1], 2.0, -v[16:17]
	v_fma_f64 v[2:3], v[2:3], 2.0, -v[18:19]
	;; [unrolled: 1-line block ×8, first 2 shown]
	ds_store_b128 v83, v[16:19] offset:6656
	ds_store_b128 v83, v[20:23] offset:9984
	;; [unrolled: 1-line block ×4, first 2 shown]
	ds_store_b128 v83, v[0:3]
	ds_store_b128 v83, v[4:7] offset:3328
	ds_store_b128 v83, v[8:11] offset:13312
	;; [unrolled: 1-line block ×3, first 2 shown]
	v_add_co_u32 v12, s0, 0x5000, v42
	s_waitcnt lgkmcnt(0)
	s_barrier
	buffer_gl0_inv
	global_load_b128 v[0:3], v[32:33], off offset:816
	v_add_co_ci_u32_e64 v13, s0, 0, v43, s0
	s_clause 0x2
	global_load_b128 v[4:7], v[34:35], off offset:48
	global_load_b128 v[8:11], v[34:35], off offset:3376
	;; [unrolled: 1-line block ×3, first 2 shown]
	ds_load_b128 v[16:19], v83 offset:13312
	ds_load_b128 v[20:23], v83 offset:16640
	;; [unrolled: 1-line block ×4, first 2 shown]
	s_waitcnt vmcnt(3) lgkmcnt(3)
	v_mul_f64 v[32:33], v[18:19], v[2:3]
	v_mul_f64 v[2:3], v[16:17], v[2:3]
	s_waitcnt vmcnt(2) lgkmcnt(2)
	v_mul_f64 v[34:35], v[22:23], v[6:7]
	v_mul_f64 v[6:7], v[20:21], v[6:7]
	;; [unrolled: 3-line block ×4, first 2 shown]
	v_fma_f64 v[16:17], v[16:17], v[0:1], v[32:33]
	v_fma_f64 v[18:19], v[18:19], v[0:1], -v[2:3]
	v_fma_f64 v[20:21], v[20:21], v[4:5], v[34:35]
	v_fma_f64 v[22:23], v[22:23], v[4:5], -v[6:7]
	;; [unrolled: 2-line block ×4, first 2 shown]
	ds_load_b128 v[0:3], v83
	ds_load_b128 v[4:7], v83 offset:3328
	ds_load_b128 v[8:11], v83 offset:6656
	ds_load_b128 v[12:15], v83 offset:9984
	s_waitcnt lgkmcnt(0)
	s_barrier
	buffer_gl0_inv
	v_add_f64 v[16:17], v[0:1], -v[16:17]
	v_add_f64 v[18:19], v[2:3], -v[18:19]
	;; [unrolled: 1-line block ×8, first 2 shown]
	v_fma_f64 v[0:1], v[0:1], 2.0, -v[16:17]
	v_fma_f64 v[2:3], v[2:3], 2.0, -v[18:19]
	;; [unrolled: 1-line block ×8, first 2 shown]
	ds_store_b128 v83, v[16:19] offset:13312
	ds_store_b128 v83, v[20:23] offset:16640
	;; [unrolled: 1-line block ×4, first 2 shown]
	ds_store_b128 v83, v[0:3]
	ds_store_b128 v83, v[4:7] offset:3328
	ds_store_b128 v83, v[8:11] offset:6656
	;; [unrolled: 1-line block ×3, first 2 shown]
	s_waitcnt lgkmcnt(0)
	s_barrier
	buffer_gl0_inv
	s_and_saveexec_b32 s0, vcc_lo
	s_cbranch_execz .LBB0_21
; %bb.20:
	v_lshl_add_u32 v20, v54, 4, 0
	v_dual_mov_b32 v55, 0 :: v_dual_add_nc_u32 v8, 0xd0, v54
	v_add_co_u32 v36, vcc_lo, s8, v52
	ds_load_b128 v[0:3], v20
	ds_load_b128 v[4:7], v20 offset:3328
	v_dual_mov_b32 v9, v55 :: v_dual_add_nc_u32 v12, 0x1a0, v54
	v_lshlrev_b64 v[10:11], 4, v[54:55]
	v_add_co_ci_u32_e32 v37, vcc_lo, s9, v53, vcc_lo
	s_delay_alu instid0(VALU_DEP_3) | instskip(SKIP_1) | instid1(VALU_DEP_4)
	v_lshlrev_b64 v[8:9], 4, v[8:9]
	v_dual_mov_b32 v13, v55 :: v_dual_add_nc_u32 v14, 0x270, v54
	v_add_co_u32 v10, vcc_lo, v36, v10
	s_delay_alu instid0(VALU_DEP_4) | instskip(NEXT) | instid1(VALU_DEP_4)
	v_add_co_ci_u32_e32 v11, vcc_lo, v37, v11, vcc_lo
	v_add_co_u32 v8, vcc_lo, v36, v8
	v_mov_b32_e32 v15, v55
	v_add_co_ci_u32_e32 v9, vcc_lo, v37, v9, vcc_lo
	v_lshlrev_b64 v[12:13], 4, v[12:13]
	v_dual_mov_b32 v17, v55 :: v_dual_add_nc_u32 v18, 0x4e0, v54
	s_waitcnt lgkmcnt(1)
	global_store_b128 v[10:11], v[0:3], off
	s_waitcnt lgkmcnt(0)
	global_store_b128 v[8:9], v[4:7], off
	v_add_nc_u32_e32 v10, 0x340, v54
	v_lshlrev_b64 v[8:9], 4, v[14:15]
	v_add_co_u32 v24, vcc_lo, v36, v12
	v_dual_mov_b32 v11, v55 :: v_dual_add_nc_u32 v16, 0x410, v54
	v_add_co_ci_u32_e32 v25, vcc_lo, v37, v13, vcc_lo
	s_delay_alu instid0(VALU_DEP_4) | instskip(SKIP_1) | instid1(VALU_DEP_4)
	v_add_co_u32 v26, vcc_lo, v36, v8
	v_add_co_ci_u32_e32 v27, vcc_lo, v37, v9, vcc_lo
	v_lshlrev_b64 v[8:9], 4, v[10:11]
	v_dual_mov_b32 v19, v55 :: v_dual_add_nc_u32 v54, 0x5b0, v54
	ds_load_b128 v[0:3], v20 offset:6656
	ds_load_b128 v[4:7], v20 offset:9984
	v_lshlrev_b64 v[30:31], 4, v[16:17]
	v_add_co_u32 v28, vcc_lo, v36, v8
	v_add_co_ci_u32_e32 v29, vcc_lo, v37, v9, vcc_lo
	ds_load_b128 v[8:11], v20 offset:13312
	ds_load_b128 v[12:15], v20 offset:16640
	v_lshlrev_b64 v[32:33], 4, v[18:19]
	ds_load_b128 v[16:19], v20 offset:19968
	ds_load_b128 v[20:23], v20 offset:23296
	v_add_co_u32 v30, vcc_lo, v36, v30
	v_lshlrev_b64 v[34:35], 4, v[54:55]
	v_add_co_ci_u32_e32 v31, vcc_lo, v37, v31, vcc_lo
	v_add_co_u32 v32, vcc_lo, v36, v32
	v_add_co_ci_u32_e32 v33, vcc_lo, v37, v33, vcc_lo
	s_delay_alu instid0(VALU_DEP_4)
	v_add_co_u32 v34, vcc_lo, v36, v34
	v_add_co_ci_u32_e32 v35, vcc_lo, v37, v35, vcc_lo
	s_waitcnt lgkmcnt(5)
	global_store_b128 v[24:25], v[0:3], off
	s_waitcnt lgkmcnt(4)
	global_store_b128 v[26:27], v[4:7], off
	;; [unrolled: 2-line block ×6, first 2 shown]
.LBB0_21:
	s_nop 0
	s_sendmsg sendmsg(MSG_DEALLOC_VGPRS)
	s_endpgm
	.section	.rodata,"a",@progbits
	.p2align	6, 0x0
	.amdhsa_kernel fft_rtc_back_len1664_factors_13_2_2_4_2_2_2_wgs_208_tpt_208_halfLds_dp_ip_CI_unitstride_sbrr_C2R_dirReg
		.amdhsa_group_segment_fixed_size 0
		.amdhsa_private_segment_fixed_size 0
		.amdhsa_kernarg_size 88
		.amdhsa_user_sgpr_count 15
		.amdhsa_user_sgpr_dispatch_ptr 0
		.amdhsa_user_sgpr_queue_ptr 0
		.amdhsa_user_sgpr_kernarg_segment_ptr 1
		.amdhsa_user_sgpr_dispatch_id 0
		.amdhsa_user_sgpr_private_segment_size 0
		.amdhsa_wavefront_size32 1
		.amdhsa_uses_dynamic_stack 0
		.amdhsa_enable_private_segment 0
		.amdhsa_system_sgpr_workgroup_id_x 1
		.amdhsa_system_sgpr_workgroup_id_y 0
		.amdhsa_system_sgpr_workgroup_id_z 0
		.amdhsa_system_sgpr_workgroup_info 0
		.amdhsa_system_vgpr_workitem_id 0
		.amdhsa_next_free_vgpr 210
		.amdhsa_next_free_sgpr 38
		.amdhsa_reserve_vcc 1
		.amdhsa_float_round_mode_32 0
		.amdhsa_float_round_mode_16_64 0
		.amdhsa_float_denorm_mode_32 3
		.amdhsa_float_denorm_mode_16_64 3
		.amdhsa_dx10_clamp 1
		.amdhsa_ieee_mode 1
		.amdhsa_fp16_overflow 0
		.amdhsa_workgroup_processor_mode 1
		.amdhsa_memory_ordered 1
		.amdhsa_forward_progress 0
		.amdhsa_shared_vgpr_count 0
		.amdhsa_exception_fp_ieee_invalid_op 0
		.amdhsa_exception_fp_denorm_src 0
		.amdhsa_exception_fp_ieee_div_zero 0
		.amdhsa_exception_fp_ieee_overflow 0
		.amdhsa_exception_fp_ieee_underflow 0
		.amdhsa_exception_fp_ieee_inexact 0
		.amdhsa_exception_int_div_zero 0
	.end_amdhsa_kernel
	.text
.Lfunc_end0:
	.size	fft_rtc_back_len1664_factors_13_2_2_4_2_2_2_wgs_208_tpt_208_halfLds_dp_ip_CI_unitstride_sbrr_C2R_dirReg, .Lfunc_end0-fft_rtc_back_len1664_factors_13_2_2_4_2_2_2_wgs_208_tpt_208_halfLds_dp_ip_CI_unitstride_sbrr_C2R_dirReg
                                        ; -- End function
	.section	.AMDGPU.csdata,"",@progbits
; Kernel info:
; codeLenInByte = 10820
; NumSgprs: 40
; NumVgprs: 210
; ScratchSize: 0
; MemoryBound: 0
; FloatMode: 240
; IeeeMode: 1
; LDSByteSize: 0 bytes/workgroup (compile time only)
; SGPRBlocks: 4
; VGPRBlocks: 26
; NumSGPRsForWavesPerEU: 40
; NumVGPRsForWavesPerEU: 210
; Occupancy: 7
; WaveLimiterHint : 1
; COMPUTE_PGM_RSRC2:SCRATCH_EN: 0
; COMPUTE_PGM_RSRC2:USER_SGPR: 15
; COMPUTE_PGM_RSRC2:TRAP_HANDLER: 0
; COMPUTE_PGM_RSRC2:TGID_X_EN: 1
; COMPUTE_PGM_RSRC2:TGID_Y_EN: 0
; COMPUTE_PGM_RSRC2:TGID_Z_EN: 0
; COMPUTE_PGM_RSRC2:TIDIG_COMP_CNT: 0
	.text
	.p2alignl 7, 3214868480
	.fill 96, 4, 3214868480
	.type	__hip_cuid_204c63ac5f12dae0,@object ; @__hip_cuid_204c63ac5f12dae0
	.section	.bss,"aw",@nobits
	.globl	__hip_cuid_204c63ac5f12dae0
__hip_cuid_204c63ac5f12dae0:
	.byte	0                               ; 0x0
	.size	__hip_cuid_204c63ac5f12dae0, 1

	.ident	"AMD clang version 19.0.0git (https://github.com/RadeonOpenCompute/llvm-project roc-6.4.0 25133 c7fe45cf4b819c5991fe208aaa96edf142730f1d)"
	.section	".note.GNU-stack","",@progbits
	.addrsig
	.addrsig_sym __hip_cuid_204c63ac5f12dae0
	.amdgpu_metadata
---
amdhsa.kernels:
  - .args:
      - .actual_access:  read_only
        .address_space:  global
        .offset:         0
        .size:           8
        .value_kind:     global_buffer
      - .offset:         8
        .size:           8
        .value_kind:     by_value
      - .actual_access:  read_only
        .address_space:  global
        .offset:         16
        .size:           8
        .value_kind:     global_buffer
      - .actual_access:  read_only
        .address_space:  global
        .offset:         24
        .size:           8
        .value_kind:     global_buffer
      - .offset:         32
        .size:           8
        .value_kind:     by_value
      - .actual_access:  read_only
        .address_space:  global
        .offset:         40
        .size:           8
        .value_kind:     global_buffer
      - .actual_access:  read_only
        .address_space:  global
        .offset:         48
        .size:           8
        .value_kind:     global_buffer
      - .offset:         56
        .size:           4
        .value_kind:     by_value
      - .actual_access:  read_only
        .address_space:  global
        .offset:         64
        .size:           8
        .value_kind:     global_buffer
      - .actual_access:  read_only
        .address_space:  global
        .offset:         72
        .size:           8
        .value_kind:     global_buffer
      - .address_space:  global
        .offset:         80
        .size:           8
        .value_kind:     global_buffer
    .group_segment_fixed_size: 0
    .kernarg_segment_align: 8
    .kernarg_segment_size: 88
    .language:       OpenCL C
    .language_version:
      - 2
      - 0
    .max_flat_workgroup_size: 208
    .name:           fft_rtc_back_len1664_factors_13_2_2_4_2_2_2_wgs_208_tpt_208_halfLds_dp_ip_CI_unitstride_sbrr_C2R_dirReg
    .private_segment_fixed_size: 0
    .sgpr_count:     40
    .sgpr_spill_count: 0
    .symbol:         fft_rtc_back_len1664_factors_13_2_2_4_2_2_2_wgs_208_tpt_208_halfLds_dp_ip_CI_unitstride_sbrr_C2R_dirReg.kd
    .uniform_work_group_size: 1
    .uses_dynamic_stack: false
    .vgpr_count:     210
    .vgpr_spill_count: 0
    .wavefront_size: 32
    .workgroup_processor_mode: 1
amdhsa.target:   amdgcn-amd-amdhsa--gfx1100
amdhsa.version:
  - 1
  - 2
...

	.end_amdgpu_metadata
